;; amdgpu-corpus repo=zjin-lcf/HeCBench kind=compiled arch=gfx906 opt=O3
	.amdgcn_target "amdgcn-amd-amdhsa--gfx906"
	.amdhsa_code_object_version 6
	.text
	.protected	_Z15accuracy_kerneliiiPKfPKiPi ; -- Begin function _Z15accuracy_kerneliiiPKfPKiPi
	.globl	_Z15accuracy_kerneliiiPKfPKiPi
	.p2align	8
	.type	_Z15accuracy_kerneliiiPKfPKiPi,@function
_Z15accuracy_kerneliiiPKfPKiPi:         ; @_Z15accuracy_kerneliiiPKfPKiPi
; %bb.0:
	s_load_dwordx4 s[12:15], s[4:5], 0x0
	v_mov_b32_e32 v1, 0
	s_waitcnt lgkmcnt(0)
	s_cmp_ge_i32 s6, s12
	s_cbranch_scc1 .LBB0_15
; %bb.1:
	v_mbcnt_lo_u32_b32 v2, -1, 0
	s_load_dwordx4 s[16:19], s[4:5], 0x10
	s_load_dword s15, s[4:5], 0x28
	v_mbcnt_hi_u32_b32 v5, -1, v2
	v_and_b32_e32 v7, 3, v5
	v_cmp_ne_u32_e64 s[8:9], 3, v7
	s_add_u32 s20, s4, 40
	v_lshlrev_b32_e32 v6, 2, v5
	v_cmp_eq_u32_e64 s[0:1], 0, v5
	v_lshrrev_b32_e32 v3, 4, v0
	v_addc_co_u32_e64 v5, s[8:9], 0, v5, s[8:9]
	v_cmp_gt_i32_e32 vcc, s13, v0
	s_addc_u32 s21, s5, 0
	v_mov_b32_e32 v1, 0
	v_or_b32_e32 v2, 0xfc, v6
	v_and_b32_e32 v3, 60, v3
	v_cmp_gt_u32_e64 s[2:3], 64, v0
	v_lshlrev_b32_e32 v4, 2, v7
	v_lshlrev_b32_e32 v5, 2, v5
	v_or_b32_e32 v6, 8, v6
	s_mul_i32 s30, s6, s13
	s_waitcnt lgkmcnt(0)
	s_mul_i32 s31, s15, s13
	s_branch .LBB0_3
.LBB0_2:                                ;   in Loop: Header=BB0_3 Depth=1
	s_or_b64 exec, exec, s[8:9]
	v_cmp_ge_i32_e64 s[8:9], s14, v7
	s_add_i32 s6, s15, s6
	s_add_i32 s30, s30, s31
	v_addc_co_u32_e64 v1, s[8:9], 0, v1, s[8:9]
	s_cmp_ge_i32 s6, s12
	s_barrier
	s_cbranch_scc1 .LBB0_15
.LBB0_3:                                ; =>This Loop Header: Depth=1
                                        ;     Child Loop BB0_6 Depth 2
	v_mov_b32_e32 v7, 0
	s_and_saveexec_b64 s[22:23], vcc
	s_cbranch_execz .LBB0_11
; %bb.4:                                ;   in Loop: Header=BB0_3 Depth=1
	s_ashr_i32 s7, s6, 31
	s_lshl_b64 s[8:9], s[6:7], 2
	s_add_u32 s8, s18, s8
	s_addc_u32 s9, s19, s9
	s_load_dword s7, s[8:9], 0x0
	s_mul_i32 s8, s6, s13
	s_load_dword s10, s[20:21], 0xc
	v_mov_b32_e32 v7, 0
	s_mov_b64 s[24:25], 0
	s_waitcnt lgkmcnt(0)
	s_add_i32 s8, s7, s8
	s_ashr_i32 s9, s8, 31
	s_lshl_b64 s[8:9], s[8:9], 2
	s_add_u32 s8, s16, s8
	s_addc_u32 s9, s17, s9
	s_load_dword s33, s[8:9], 0x0
	s_and_b32 s34, s10, 0xffff
	v_mov_b32_e32 v8, v0
	s_branch .LBB0_6
.LBB0_5:                                ;   in Loop: Header=BB0_6 Depth=2
	s_or_b64 exec, exec, s[8:9]
	v_add_u32_e32 v8, s34, v8
	v_cmp_le_i32_e64 s[8:9], s13, v8
	s_or_b64 s[24:25], s[8:9], s[24:25]
	s_andn2_b64 exec, exec, s[24:25]
	s_cbranch_execz .LBB0_10
.LBB0_6:                                ;   Parent Loop BB0_3 Depth=1
                                        ; =>  This Inner Loop Header: Depth=2
	v_add_u32_e32 v9, s30, v8
	v_ashrrev_i32_e32 v10, 31, v9
	v_lshlrev_b64 v[9:10], 2, v[9:10]
	v_mov_b32_e32 v11, s17
	v_add_co_u32_e64 v9, s[8:9], s16, v9
	v_addc_co_u32_e64 v10, s[8:9], v11, v10, s[8:9]
	global_load_dword v9, v[9:10], off
	s_waitcnt vmcnt(0) lgkmcnt(0)
	v_cmp_lt_f32_e64 s[26:27], s33, v9
	v_cmp_nlt_f32_e64 s[8:9], s33, v9
	s_and_saveexec_b64 s[28:29], s[8:9]
; %bb.7:                                ;   in Loop: Header=BB0_6 Depth=2
	v_cmp_eq_f32_e64 s[8:9], s33, v9
	v_cmp_ge_i32_e64 s[10:11], s7, v8
	s_and_b64 s[8:9], s[10:11], s[8:9]
	s_andn2_b64 s[10:11], s[26:27], exec
	s_and_b64 s[8:9], s[8:9], exec
	s_or_b64 s[26:27], s[10:11], s[8:9]
; %bb.8:                                ;   in Loop: Header=BB0_6 Depth=2
	s_or_b64 exec, exec, s[28:29]
	s_and_saveexec_b64 s[8:9], s[26:27]
	s_cbranch_execz .LBB0_5
; %bb.9:                                ;   in Loop: Header=BB0_6 Depth=2
	v_add_u32_e32 v7, 1, v7
	s_branch .LBB0_5
.LBB0_10:                               ;   in Loop: Header=BB0_3 Depth=1
	s_or_b64 exec, exec, s[24:25]
.LBB0_11:                               ;   in Loop: Header=BB0_3 Depth=1
	s_or_b64 exec, exec, s[22:23]
	v_add_u32_dpp v7, v7, v7 quad_perm:[1,0,3,2] row_mask:0xf bank_mask:0xf bound_ctrl:1
	s_nop 1
	v_add_u32_dpp v7, v7, v7 quad_perm:[2,3,0,1] row_mask:0xf bank_mask:0xf bound_ctrl:1
	s_nop 1
	v_add_u32_dpp v7, v7, v7 row_ror:4 row_mask:0xf bank_mask:0xf bound_ctrl:1
	s_nop 1
	v_add_u32_dpp v7, v7, v7 row_ror:8 row_mask:0xf bank_mask:0xf bound_ctrl:1
	s_nop 1
	v_add_u32_dpp v7, v7, v7 row_bcast:15 row_mask:0xf bank_mask:0xf bound_ctrl:1
	s_nop 1
	v_add_u32_dpp v7, v7, v7 row_bcast:31 row_mask:0xf bank_mask:0xf bound_ctrl:1
	ds_bpermute_b32 v7, v2, v7
	s_and_saveexec_b64 s[8:9], s[0:1]
	s_cbranch_execz .LBB0_13
; %bb.12:                               ;   in Loop: Header=BB0_3 Depth=1
	s_waitcnt lgkmcnt(0)
	ds_write_b32 v3, v7
.LBB0_13:                               ;   in Loop: Header=BB0_3 Depth=1
	s_or_b64 exec, exec, s[8:9]
	s_waitcnt lgkmcnt(0)
	s_barrier
	s_and_saveexec_b64 s[8:9], s[2:3]
	s_cbranch_execz .LBB0_2
; %bb.14:                               ;   in Loop: Header=BB0_3 Depth=1
	ds_read_b32 v7, v4
	s_waitcnt lgkmcnt(0)
	ds_bpermute_b32 v8, v5, v7
	s_waitcnt lgkmcnt(0)
	v_add_u32_e32 v7, v8, v7
	ds_bpermute_b32 v8, v6, v7
	s_waitcnt lgkmcnt(0)
	v_add_u32_e32 v7, v8, v7
	s_branch .LBB0_2
.LBB0_15:
	s_mov_b32 s2, 0
	v_cmp_eq_u32_e32 vcc, 0, v0
	s_and_saveexec_b64 s[0:1], vcc
	s_cbranch_execz .LBB0_20
; %bb.16:
	s_mov_b64 s[0:1], exec
.LBB0_17:                               ; =>This Inner Loop Header: Depth=1
	s_ff1_i32_b64 s3, s[0:1]
	v_readlane_b32 s8, v1, s3
	s_lshl_b64 s[6:7], 1, s3
	s_add_i32 s2, s2, s8
	s_andn2_b64 s[0:1], s[0:1], s[6:7]
	s_cmp_lg_u64 s[0:1], 0
	s_cbranch_scc1 .LBB0_17
; %bb.18:
	v_mbcnt_lo_u32_b32 v0, exec_lo, 0
	v_mbcnt_hi_u32_b32 v0, exec_hi, v0
	v_cmp_eq_u32_e32 vcc, 0, v0
	s_and_saveexec_b64 s[0:1], vcc
	s_xor_b64 s[0:1], exec, s[0:1]
	s_cbranch_execz .LBB0_20
; %bb.19:
	s_load_dwordx2 s[0:1], s[4:5], 0x20
	v_mov_b32_e32 v0, 0
	v_mov_b32_e32 v1, s2
	s_waitcnt lgkmcnt(0)
	global_atomic_add v0, v1, s[0:1]
.LBB0_20:
	s_endpgm
	.section	.rodata,"a",@progbits
	.p2align	6, 0x0
	.amdhsa_kernel _Z15accuracy_kerneliiiPKfPKiPi
		.amdhsa_group_segment_fixed_size 16
		.amdhsa_private_segment_fixed_size 0
		.amdhsa_kernarg_size 296
		.amdhsa_user_sgpr_count 6
		.amdhsa_user_sgpr_private_segment_buffer 1
		.amdhsa_user_sgpr_dispatch_ptr 0
		.amdhsa_user_sgpr_queue_ptr 0
		.amdhsa_user_sgpr_kernarg_segment_ptr 1
		.amdhsa_user_sgpr_dispatch_id 0
		.amdhsa_user_sgpr_flat_scratch_init 0
		.amdhsa_user_sgpr_private_segment_size 0
		.amdhsa_uses_dynamic_stack 0
		.amdhsa_system_sgpr_private_segment_wavefront_offset 0
		.amdhsa_system_sgpr_workgroup_id_x 1
		.amdhsa_system_sgpr_workgroup_id_y 0
		.amdhsa_system_sgpr_workgroup_id_z 0
		.amdhsa_system_sgpr_workgroup_info 0
		.amdhsa_system_vgpr_workitem_id 0
		.amdhsa_next_free_vgpr 12
		.amdhsa_next_free_sgpr 35
		.amdhsa_reserve_vcc 1
		.amdhsa_reserve_flat_scratch 0
		.amdhsa_float_round_mode_32 0
		.amdhsa_float_round_mode_16_64 0
		.amdhsa_float_denorm_mode_32 3
		.amdhsa_float_denorm_mode_16_64 3
		.amdhsa_dx10_clamp 1
		.amdhsa_ieee_mode 1
		.amdhsa_fp16_overflow 0
		.amdhsa_exception_fp_ieee_invalid_op 0
		.amdhsa_exception_fp_denorm_src 0
		.amdhsa_exception_fp_ieee_div_zero 0
		.amdhsa_exception_fp_ieee_overflow 0
		.amdhsa_exception_fp_ieee_underflow 0
		.amdhsa_exception_fp_ieee_inexact 0
		.amdhsa_exception_int_div_zero 0
	.end_amdhsa_kernel
	.text
.Lfunc_end0:
	.size	_Z15accuracy_kerneliiiPKfPKiPi, .Lfunc_end0-_Z15accuracy_kerneliiiPKfPKiPi
                                        ; -- End function
	.set _Z15accuracy_kerneliiiPKfPKiPi.num_vgpr, 12
	.set _Z15accuracy_kerneliiiPKfPKiPi.num_agpr, 0
	.set _Z15accuracy_kerneliiiPKfPKiPi.numbered_sgpr, 35
	.set _Z15accuracy_kerneliiiPKfPKiPi.num_named_barrier, 0
	.set _Z15accuracy_kerneliiiPKfPKiPi.private_seg_size, 0
	.set _Z15accuracy_kerneliiiPKfPKiPi.uses_vcc, 1
	.set _Z15accuracy_kerneliiiPKfPKiPi.uses_flat_scratch, 0
	.set _Z15accuracy_kerneliiiPKfPKiPi.has_dyn_sized_stack, 0
	.set _Z15accuracy_kerneliiiPKfPKiPi.has_recursion, 0
	.set _Z15accuracy_kerneliiiPKfPKiPi.has_indirect_call, 0
	.section	.AMDGPU.csdata,"",@progbits
; Kernel info:
; codeLenInByte = 736
; TotalNumSgprs: 39
; NumVgprs: 12
; ScratchSize: 0
; MemoryBound: 0
; FloatMode: 240
; IeeeMode: 1
; LDSByteSize: 16 bytes/workgroup (compile time only)
; SGPRBlocks: 4
; VGPRBlocks: 2
; NumSGPRsForWavesPerEU: 39
; NumVGPRsForWavesPerEU: 12
; Occupancy: 10
; WaveLimiterHint : 1
; COMPUTE_PGM_RSRC2:SCRATCH_EN: 0
; COMPUTE_PGM_RSRC2:USER_SGPR: 6
; COMPUTE_PGM_RSRC2:TRAP_HANDLER: 0
; COMPUTE_PGM_RSRC2:TGID_X_EN: 1
; COMPUTE_PGM_RSRC2:TGID_Y_EN: 0
; COMPUTE_PGM_RSRC2:TGID_Z_EN: 0
; COMPUTE_PGM_RSRC2:TIDIG_COMP_CNT: 0
	.text
	.protected	_Z16accuracy_kernel2iiiPKfPKiPi ; -- Begin function _Z16accuracy_kernel2iiiPKfPKiPi
	.globl	_Z16accuracy_kernel2iiiPKfPKiPi
	.p2align	8
	.type	_Z16accuracy_kernel2iiiPKfPKiPi,@function
_Z16accuracy_kernel2iiiPKfPKiPi:        ; @_Z16accuracy_kernel2iiiPKfPKiPi
; %bb.0:
	s_load_dwordx4 s[20:23], s[4:5], 0x0
	v_mov_b32_e32 v10, 0
	v_cmp_eq_u32_e32 vcc, 0, v0
	s_waitcnt lgkmcnt(0)
	s_cmp_ge_i32 s6, s20
	s_cbranch_scc1 .LBB1_29
; %bb.1:
	s_load_dword s2, s[4:5], 0x34
	s_load_dwordx4 s[24:27], s[4:5], 0x10
	s_load_dword s23, s[4:5], 0x28
	v_lshrrev_b32_e32 v4, 4, v0
	v_and_b32_e32 v12, 60, v4
	s_waitcnt lgkmcnt(0)
	s_and_b32 s33, s2, 0xffff
	s_mul_i32 s34, s33, 3
	v_add_u32_e32 v1, s34, v0
	v_cmp_gt_u32_e64 s[2:3], s21, v1
	v_mbcnt_lo_u32_b32 v1, -1, 0
	v_mbcnt_hi_u32_b32 v1, -1, v1
	v_and_b32_e32 v4, 3, v1
	v_cmp_ne_u32_e64 s[12:13], 3, v4
	v_lshlrev_b32_e32 v3, 2, v1
	v_cmp_eq_u32_e64 s[8:9], 0, v1
	v_addc_co_u32_e64 v1, s[12:13], 0, v1, s[12:13]
	s_lshl_b32 s35, s33, 1
	v_mov_b32_e32 v2, 0
	v_cmp_ne_u32_e64 s[0:1], 0, v0
	v_or_b32_e32 v11, 0xfc, v3
	v_cmp_gt_u32_e64 s[10:11], 64, v0
	v_lshlrev_b32_e32 v13, 2, v4
	v_lshlrev_b32_e32 v14, 2, v1
	v_or_b32_e32 v15, 8, v3
	v_mov_b32_e32 v16, s25
	s_add_i32 s36, s35, s33
	v_mov_b32_e32 v10, 0
	s_branch .LBB1_3
.LBB1_2:                                ;   in Loop: Header=BB1_3 Depth=1
	s_or_b64 exec, exec, s[12:13]
	v_cmp_ge_i32_e64 s[12:13], s22, v1
	s_and_b64 s[12:13], vcc, s[12:13]
	v_cndmask_b32_e64 v1, 0, 1, s[12:13]
	s_add_i32 s6, s23, s6
	v_add_u32_e32 v10, v10, v1
	s_cmp_ge_i32 s6, s20
	s_barrier
	s_cbranch_scc1 .LBB1_29
.LBB1_3:                                ; =>This Loop Header: Depth=1
                                        ;     Child Loop BB1_9 Depth 2
                                        ;     Child Loop BB1_23 Depth 2
	s_mul_i32 s14, s6, s21
	s_and_saveexec_b64 s[12:13], s[0:1]
	s_xor_b64 s[12:13], exec, s[12:13]
	s_or_saveexec_b64 s[12:13], s[12:13]
	v_mov_b32_e32 v5, s14
	s_xor_b64 exec, exec, s[12:13]
	s_cbranch_execz .LBB1_5
; %bb.4:                                ;   in Loop: Header=BB1_3 Depth=1
	s_ashr_i32 s7, s6, 31
	s_lshl_b64 s[16:17], s[6:7], 2
	s_add_u32 s16, s26, s16
	s_addc_u32 s17, s27, s17
	s_load_dword s7, s[16:17], 0x0
	v_mov_b32_e32 v5, s14
	s_waitcnt lgkmcnt(0)
	s_add_i32 s16, s7, s14
	s_ashr_i32 s17, s16, 31
	s_lshl_b64 s[16:17], s[16:17], 2
	s_add_u32 s16, s24, s16
	s_addc_u32 s17, s25, s17
	s_load_dword s15, s[16:17], 0x0
	v_mov_b32_e32 v4, s7
	s_waitcnt lgkmcnt(0)
	v_mov_b32_e32 v3, s15
	ds_write_b64 v2, v[3:4] offset:16
.LBB1_5:                                ;   in Loop: Header=BB1_3 Depth=1
	s_or_b64 exec, exec, s[12:13]
	v_mov_b32_e32 v17, 0
	s_waitcnt lgkmcnt(0)
	s_barrier
	ds_read_b64 v[3:4], v17 offset:16
	v_ashrrev_i32_e32 v6, 31, v5
	v_lshlrev_b64 v[5:6], 2, v[5:6]
	v_add_co_u32_e64 v18, s[12:13], s24, v5
	v_addc_co_u32_e64 v19, s[12:13], v16, v6, s[12:13]
	v_mov_b32_e32 v5, v0
	s_and_saveexec_b64 s[18:19], s[2:3]
	s_cbranch_execz .LBB1_21
; %bb.6:                                ;   in Loop: Header=BB1_3 Depth=1
	v_mov_b32_e32 v17, 0
	s_mov_b64 s[28:29], 0
	v_mov_b32_e32 v5, v0
	s_branch .LBB1_9
.LBB1_7:                                ;   in Loop: Header=BB1_9 Depth=2
	s_or_b64 exec, exec, s[16:17]
.LBB1_8:                                ;   in Loop: Header=BB1_9 Depth=2
	s_or_b64 exec, exec, s[14:15]
	s_waitcnt vmcnt(0)
	v_cmp_eq_f32_e64 s[14:15], v7, v3
	v_cmp_le_i32_e64 s[16:17], v5, v4
	v_cmp_gt_f32_e64 s[12:13], v7, v3
	s_and_b64 s[14:15], s[14:15], s[16:17]
	s_or_b64 s[12:13], s[12:13], s[14:15]
	v_add_u32_e32 v5, s36, v1
	v_addc_co_u32_e64 v6, s[12:13], v20, v17, s[12:13]
	v_add_u32_e32 v1, s34, v5
	v_cmp_le_u32_e64 s[12:13], s21, v1
	s_or_b64 s[28:29], s[12:13], s[28:29]
	v_add3_u32 v17, v6, v9, v8
	s_andn2_b64 exec, exec, s[28:29]
	s_cbranch_execz .LBB1_20
.LBB1_9:                                ;   Parent Loop BB1_3 Depth=1
                                        ; =>  This Inner Loop Header: Depth=2
	v_ashrrev_i32_e32 v6, 31, v5
	v_lshlrev_b64 v[6:7], 2, v[5:6]
	v_add_u32_e32 v1, s33, v5
	v_add_co_u32_e64 v24, s[12:13], v18, v6
	v_addc_co_u32_e64 v25, s[12:13], v19, v7, s[12:13]
	v_lshlrev_b64 v[6:7], 2, v[1:2]
	v_add_u32_e32 v8, s35, v5
	v_add_co_u32_e64 v26, s[12:13], v18, v6
	v_mov_b32_e32 v9, v2
	v_addc_co_u32_e64 v27, s[12:13], v19, v7, s[12:13]
	v_lshlrev_b64 v[6:7], 2, v[8:9]
	v_mov_b32_e32 v9, 1
	v_add_co_u32_e64 v28, s[12:13], v18, v6
	v_addc_co_u32_e64 v29, s[12:13], v19, v7, s[12:13]
	v_add_u32_e32 v6, s34, v5
	v_mov_b32_e32 v7, v2
	v_lshlrev_b64 v[20:21], 2, v[6:7]
	v_add_co_u32_e64 v30, s[12:13], v18, v20
	v_addc_co_u32_e64 v31, s[12:13], v19, v21, s[12:13]
	global_load_dword v23, v[26:27], off
	global_load_dword v22, v[28:29], off
	;; [unrolled: 1-line block ×4, first 2 shown]
	v_mov_b32_e32 v20, 1
	s_waitcnt vmcnt(3) lgkmcnt(0)
	v_cmp_ngt_f32_e64 s[12:13], v23, v3
	s_and_saveexec_b64 s[14:15], s[12:13]
	s_cbranch_execz .LBB1_13
; %bb.10:                               ;   in Loop: Header=BB1_9 Depth=2
	v_cmp_eq_f32_e64 s[12:13], v23, v3
	v_mov_b32_e32 v20, 0
	s_and_saveexec_b64 s[16:17], s[12:13]
; %bb.11:                               ;   in Loop: Header=BB1_9 Depth=2
	v_cmp_le_u32_e64 s[12:13], v1, v4
	v_cndmask_b32_e64 v20, 0, 1, s[12:13]
; %bb.12:                               ;   in Loop: Header=BB1_9 Depth=2
	s_or_b64 exec, exec, s[16:17]
.LBB1_13:                               ;   in Loop: Header=BB1_9 Depth=2
	s_or_b64 exec, exec, s[14:15]
	s_waitcnt vmcnt(2)
	v_cmp_ngt_f32_e64 s[12:13], v22, v3
	s_and_saveexec_b64 s[14:15], s[12:13]
	s_cbranch_execz .LBB1_17
; %bb.14:                               ;   in Loop: Header=BB1_9 Depth=2
	v_cmp_eq_f32_e64 s[12:13], v22, v3
	v_mov_b32_e32 v9, 0
	s_and_saveexec_b64 s[16:17], s[12:13]
; %bb.15:                               ;   in Loop: Header=BB1_9 Depth=2
	v_cmp_le_u32_e64 s[12:13], v8, v4
	v_cndmask_b32_e64 v9, 0, 1, s[12:13]
; %bb.16:                               ;   in Loop: Header=BB1_9 Depth=2
	s_or_b64 exec, exec, s[16:17]
.LBB1_17:                               ;   in Loop: Header=BB1_9 Depth=2
	s_or_b64 exec, exec, s[14:15]
	s_waitcnt vmcnt(1)
	v_cmp_ngt_f32_e64 s[12:13], v21, v3
	v_mov_b32_e32 v8, 1
	s_and_saveexec_b64 s[14:15], s[12:13]
	s_cbranch_execz .LBB1_8
; %bb.18:                               ;   in Loop: Header=BB1_9 Depth=2
	v_cmp_eq_f32_e64 s[12:13], v21, v3
	v_mov_b32_e32 v8, 0
	s_and_saveexec_b64 s[16:17], s[12:13]
	s_cbranch_execz .LBB1_7
; %bb.19:                               ;   in Loop: Header=BB1_9 Depth=2
	v_cmp_le_u32_e64 s[12:13], v6, v4
	v_cndmask_b32_e64 v8, 0, 1, s[12:13]
	s_branch .LBB1_7
.LBB1_20:                               ;   in Loop: Header=BB1_3 Depth=1
	s_or_b64 exec, exec, s[28:29]
.LBB1_21:                               ;   in Loop: Header=BB1_3 Depth=1
	s_or_b64 exec, exec, s[18:19]
	v_cmp_gt_i32_e64 s[12:13], s21, v5
	s_and_saveexec_b64 s[28:29], s[12:13]
	s_cbranch_execz .LBB1_25
; %bb.22:                               ;   in Loop: Header=BB1_3 Depth=1
	s_mov_b64 s[30:31], 0
.LBB1_23:                               ;   Parent Loop BB1_3 Depth=1
                                        ; =>  This Inner Loop Header: Depth=2
	v_ashrrev_i32_e32 v6, 31, v5
	v_lshlrev_b64 v[6:7], 2, v[5:6]
	v_add_co_u32_e64 v6, s[12:13], v18, v6
	v_addc_co_u32_e64 v7, s[12:13], v19, v7, s[12:13]
	global_load_dword v1, v[6:7], off
	s_waitcnt lgkmcnt(0)
	v_cmp_le_i32_e64 s[12:13], v5, v4
	v_add_u32_e32 v5, s33, v5
	v_cmp_le_i32_e64 s[14:15], s21, v5
	s_waitcnt vmcnt(0)
	v_cmp_eq_f32_e64 s[18:19], v1, v3
	v_cmp_gt_f32_e64 s[16:17], v1, v3
	s_and_b64 s[12:13], s[18:19], s[12:13]
	s_or_b64 s[12:13], s[16:17], s[12:13]
	s_or_b64 s[30:31], s[14:15], s[30:31]
	v_addc_co_u32_e64 v17, s[12:13], 0, v17, s[12:13]
	s_andn2_b64 exec, exec, s[30:31]
	s_cbranch_execnz .LBB1_23
; %bb.24:                               ;   in Loop: Header=BB1_3 Depth=1
	s_or_b64 exec, exec, s[30:31]
.LBB1_25:                               ;   in Loop: Header=BB1_3 Depth=1
	s_or_b64 exec, exec, s[28:29]
	v_add_u32_dpp v1, v17, v17 quad_perm:[1,0,3,2] row_mask:0xf bank_mask:0xf bound_ctrl:1
	s_nop 1
	v_add_u32_dpp v1, v1, v1 quad_perm:[2,3,0,1] row_mask:0xf bank_mask:0xf bound_ctrl:1
	s_nop 1
	v_add_u32_dpp v1, v1, v1 row_ror:4 row_mask:0xf bank_mask:0xf bound_ctrl:1
	s_nop 1
	v_add_u32_dpp v1, v1, v1 row_ror:8 row_mask:0xf bank_mask:0xf bound_ctrl:1
	s_nop 1
	v_add_u32_dpp v1, v1, v1 row_bcast:15 row_mask:0xf bank_mask:0xf bound_ctrl:1
	s_nop 1
	v_add_u32_dpp v1, v1, v1 row_bcast:31 row_mask:0xf bank_mask:0xf bound_ctrl:1
	ds_bpermute_b32 v1, v11, v1
	s_and_saveexec_b64 s[12:13], s[8:9]
	s_cbranch_execz .LBB1_27
; %bb.26:                               ;   in Loop: Header=BB1_3 Depth=1
	s_waitcnt lgkmcnt(0)
	ds_write_b32 v12, v1
.LBB1_27:                               ;   in Loop: Header=BB1_3 Depth=1
	s_or_b64 exec, exec, s[12:13]
	s_waitcnt lgkmcnt(0)
	s_barrier
	s_and_saveexec_b64 s[12:13], s[10:11]
	s_cbranch_execz .LBB1_2
; %bb.28:                               ;   in Loop: Header=BB1_3 Depth=1
	ds_read_b32 v1, v13
	s_waitcnt lgkmcnt(0)
	ds_bpermute_b32 v3, v14, v1
	s_waitcnt lgkmcnt(0)
	v_add_u32_e32 v1, v3, v1
	ds_bpermute_b32 v3, v15, v1
	s_waitcnt lgkmcnt(0)
	v_add_u32_e32 v1, v3, v1
	s_branch .LBB1_2
.LBB1_29:
	v_cmp_eq_u32_e32 vcc, 0, v0
	v_cmp_ne_u32_e64 s[0:1], 0, v10
	s_mov_b32 s2, 0
	s_and_b64 s[0:1], vcc, s[0:1]
	s_and_saveexec_b64 s[6:7], s[0:1]
	s_cbranch_execz .LBB1_34
; %bb.30:
	s_mov_b64 s[0:1], exec
.LBB1_31:                               ; =>This Inner Loop Header: Depth=1
	s_ff1_i32_b64 s3, s[0:1]
	v_readlane_b32 s8, v10, s3
	s_lshl_b64 s[6:7], 1, s3
	s_add_i32 s2, s2, s8
	s_andn2_b64 s[0:1], s[0:1], s[6:7]
	s_cmp_lg_u64 s[0:1], 0
	s_cbranch_scc1 .LBB1_31
; %bb.32:
	v_mbcnt_lo_u32_b32 v0, exec_lo, 0
	v_mbcnt_hi_u32_b32 v0, exec_hi, v0
	v_cmp_eq_u32_e32 vcc, 0, v0
	s_and_saveexec_b64 s[0:1], vcc
	s_xor_b64 s[0:1], exec, s[0:1]
	s_cbranch_execz .LBB1_34
; %bb.33:
	s_load_dwordx2 s[0:1], s[4:5], 0x20
	v_mov_b32_e32 v0, 0
	v_mov_b32_e32 v1, s2
	s_waitcnt lgkmcnt(0)
	global_atomic_add v0, v1, s[0:1]
.LBB1_34:
	s_endpgm
	.section	.rodata,"a",@progbits
	.p2align	6, 0x0
	.amdhsa_kernel _Z16accuracy_kernel2iiiPKfPKiPi
		.amdhsa_group_segment_fixed_size 24
		.amdhsa_private_segment_fixed_size 0
		.amdhsa_kernarg_size 296
		.amdhsa_user_sgpr_count 6
		.amdhsa_user_sgpr_private_segment_buffer 1
		.amdhsa_user_sgpr_dispatch_ptr 0
		.amdhsa_user_sgpr_queue_ptr 0
		.amdhsa_user_sgpr_kernarg_segment_ptr 1
		.amdhsa_user_sgpr_dispatch_id 0
		.amdhsa_user_sgpr_flat_scratch_init 0
		.amdhsa_user_sgpr_private_segment_size 0
		.amdhsa_uses_dynamic_stack 0
		.amdhsa_system_sgpr_private_segment_wavefront_offset 0
		.amdhsa_system_sgpr_workgroup_id_x 1
		.amdhsa_system_sgpr_workgroup_id_y 0
		.amdhsa_system_sgpr_workgroup_id_z 0
		.amdhsa_system_sgpr_workgroup_info 0
		.amdhsa_system_vgpr_workitem_id 0
		.amdhsa_next_free_vgpr 32
		.amdhsa_next_free_sgpr 37
		.amdhsa_reserve_vcc 1
		.amdhsa_reserve_flat_scratch 0
		.amdhsa_float_round_mode_32 0
		.amdhsa_float_round_mode_16_64 0
		.amdhsa_float_denorm_mode_32 3
		.amdhsa_float_denorm_mode_16_64 3
		.amdhsa_dx10_clamp 1
		.amdhsa_ieee_mode 1
		.amdhsa_fp16_overflow 0
		.amdhsa_exception_fp_ieee_invalid_op 0
		.amdhsa_exception_fp_denorm_src 0
		.amdhsa_exception_fp_ieee_div_zero 0
		.amdhsa_exception_fp_ieee_overflow 0
		.amdhsa_exception_fp_ieee_underflow 0
		.amdhsa_exception_fp_ieee_inexact 0
		.amdhsa_exception_int_div_zero 0
	.end_amdhsa_kernel
	.text
.Lfunc_end1:
	.size	_Z16accuracy_kernel2iiiPKfPKiPi, .Lfunc_end1-_Z16accuracy_kernel2iiiPKfPKiPi
                                        ; -- End function
	.set _Z16accuracy_kernel2iiiPKfPKiPi.num_vgpr, 32
	.set _Z16accuracy_kernel2iiiPKfPKiPi.num_agpr, 0
	.set _Z16accuracy_kernel2iiiPKfPKiPi.numbered_sgpr, 37
	.set _Z16accuracy_kernel2iiiPKfPKiPi.num_named_barrier, 0
	.set _Z16accuracy_kernel2iiiPKfPKiPi.private_seg_size, 0
	.set _Z16accuracy_kernel2iiiPKfPKiPi.uses_vcc, 1
	.set _Z16accuracy_kernel2iiiPKfPKiPi.uses_flat_scratch, 0
	.set _Z16accuracy_kernel2iiiPKfPKiPi.has_dyn_sized_stack, 0
	.set _Z16accuracy_kernel2iiiPKfPKiPi.has_recursion, 0
	.set _Z16accuracy_kernel2iiiPKfPKiPi.has_indirect_call, 0
	.section	.AMDGPU.csdata,"",@progbits
; Kernel info:
; codeLenInByte = 1296
; TotalNumSgprs: 41
; NumVgprs: 32
; ScratchSize: 0
; MemoryBound: 0
; FloatMode: 240
; IeeeMode: 1
; LDSByteSize: 24 bytes/workgroup (compile time only)
; SGPRBlocks: 5
; VGPRBlocks: 7
; NumSGPRsForWavesPerEU: 41
; NumVGPRsForWavesPerEU: 32
; Occupancy: 8
; WaveLimiterHint : 1
; COMPUTE_PGM_RSRC2:SCRATCH_EN: 0
; COMPUTE_PGM_RSRC2:USER_SGPR: 6
; COMPUTE_PGM_RSRC2:TRAP_HANDLER: 0
; COMPUTE_PGM_RSRC2:TGID_X_EN: 1
; COMPUTE_PGM_RSRC2:TGID_Y_EN: 0
; COMPUTE_PGM_RSRC2:TGID_Z_EN: 0
; COMPUTE_PGM_RSRC2:TIDIG_COMP_CNT: 0
	.section	.AMDGPU.gpr_maximums,"",@progbits
	.set amdgpu.max_num_vgpr, 0
	.set amdgpu.max_num_agpr, 0
	.set amdgpu.max_num_sgpr, 0
	.section	.AMDGPU.csdata,"",@progbits
	.type	__hip_cuid_1da67f0377d0e696,@object ; @__hip_cuid_1da67f0377d0e696
	.section	.bss,"aw",@nobits
	.globl	__hip_cuid_1da67f0377d0e696
__hip_cuid_1da67f0377d0e696:
	.byte	0                               ; 0x0
	.size	__hip_cuid_1da67f0377d0e696, 1

	.ident	"AMD clang version 22.0.0git (https://github.com/RadeonOpenCompute/llvm-project roc-7.2.4 26084 f58b06dce1f9c15707c5f808fd002e18c2accf7e)"
	.section	".note.GNU-stack","",@progbits
	.addrsig
	.addrsig_sym __hip_cuid_1da67f0377d0e696
	.amdgpu_metadata
---
amdhsa.kernels:
  - .args:
      - .offset:         0
        .size:           4
        .value_kind:     by_value
      - .offset:         4
        .size:           4
        .value_kind:     by_value
      - .offset:         8
        .size:           4
        .value_kind:     by_value
      - .actual_access:  read_only
        .address_space:  global
        .offset:         16
        .size:           8
        .value_kind:     global_buffer
      - .actual_access:  read_only
        .address_space:  global
        .offset:         24
        .size:           8
        .value_kind:     global_buffer
      - .address_space:  global
        .offset:         32
        .size:           8
        .value_kind:     global_buffer
      - .offset:         40
        .size:           4
        .value_kind:     hidden_block_count_x
      - .offset:         44
        .size:           4
        .value_kind:     hidden_block_count_y
      - .offset:         48
        .size:           4
        .value_kind:     hidden_block_count_z
      - .offset:         52
        .size:           2
        .value_kind:     hidden_group_size_x
      - .offset:         54
        .size:           2
        .value_kind:     hidden_group_size_y
      - .offset:         56
        .size:           2
        .value_kind:     hidden_group_size_z
      - .offset:         58
        .size:           2
        .value_kind:     hidden_remainder_x
      - .offset:         60
        .size:           2
        .value_kind:     hidden_remainder_y
      - .offset:         62
        .size:           2
        .value_kind:     hidden_remainder_z
      - .offset:         80
        .size:           8
        .value_kind:     hidden_global_offset_x
      - .offset:         88
        .size:           8
        .value_kind:     hidden_global_offset_y
      - .offset:         96
        .size:           8
        .value_kind:     hidden_global_offset_z
      - .offset:         104
        .size:           2
        .value_kind:     hidden_grid_dims
    .group_segment_fixed_size: 16
    .kernarg_segment_align: 8
    .kernarg_segment_size: 296
    .language:       OpenCL C
    .language_version:
      - 2
      - 0
    .max_flat_workgroup_size: 1024
    .name:           _Z15accuracy_kerneliiiPKfPKiPi
    .private_segment_fixed_size: 0
    .sgpr_count:     39
    .sgpr_spill_count: 0
    .symbol:         _Z15accuracy_kerneliiiPKfPKiPi.kd
    .uniform_work_group_size: 1
    .uses_dynamic_stack: false
    .vgpr_count:     12
    .vgpr_spill_count: 0
    .wavefront_size: 64
  - .args:
      - .offset:         0
        .size:           4
        .value_kind:     by_value
      - .offset:         4
        .size:           4
        .value_kind:     by_value
      - .offset:         8
        .size:           4
        .value_kind:     by_value
      - .actual_access:  read_only
        .address_space:  global
        .offset:         16
        .size:           8
        .value_kind:     global_buffer
      - .actual_access:  read_only
        .address_space:  global
        .offset:         24
        .size:           8
        .value_kind:     global_buffer
      - .address_space:  global
        .offset:         32
        .size:           8
        .value_kind:     global_buffer
      - .offset:         40
        .size:           4
        .value_kind:     hidden_block_count_x
      - .offset:         44
        .size:           4
        .value_kind:     hidden_block_count_y
      - .offset:         48
        .size:           4
        .value_kind:     hidden_block_count_z
      - .offset:         52
        .size:           2
        .value_kind:     hidden_group_size_x
      - .offset:         54
        .size:           2
        .value_kind:     hidden_group_size_y
      - .offset:         56
        .size:           2
        .value_kind:     hidden_group_size_z
      - .offset:         58
        .size:           2
        .value_kind:     hidden_remainder_x
      - .offset:         60
        .size:           2
        .value_kind:     hidden_remainder_y
      - .offset:         62
        .size:           2
        .value_kind:     hidden_remainder_z
      - .offset:         80
        .size:           8
        .value_kind:     hidden_global_offset_x
      - .offset:         88
        .size:           8
        .value_kind:     hidden_global_offset_y
      - .offset:         96
        .size:           8
        .value_kind:     hidden_global_offset_z
      - .offset:         104
        .size:           2
        .value_kind:     hidden_grid_dims
    .group_segment_fixed_size: 24
    .kernarg_segment_align: 8
    .kernarg_segment_size: 296
    .language:       OpenCL C
    .language_version:
      - 2
      - 0
    .max_flat_workgroup_size: 1024
    .name:           _Z16accuracy_kernel2iiiPKfPKiPi
    .private_segment_fixed_size: 0
    .sgpr_count:     41
    .sgpr_spill_count: 0
    .symbol:         _Z16accuracy_kernel2iiiPKfPKiPi.kd
    .uniform_work_group_size: 1
    .uses_dynamic_stack: false
    .vgpr_count:     32
    .vgpr_spill_count: 0
    .wavefront_size: 64
amdhsa.target:   amdgcn-amd-amdhsa--gfx906
amdhsa.version:
  - 1
  - 2
...

	.end_amdgpu_metadata
